;; amdgpu-corpus repo=ROCm/aiter kind=harvested arch=n/a opt=n/a

/root/src/amdgpu-assembly/repos/ROCm__aiter/hsa/gfx950/topksoftmax/topksoftmax_4x128x8_bf16.co:	file format elf64-amdgpu

Disassembly of section .text:

0000000000001c00 <_ZN5aiter24topksoftmax_4x128x8_bf16E>:
	s_and_b32 s1, s1, 0xffff                                   // 000000001C00: 8601FF01 0000FFFF
	s_load_dwordx2 s[4:5], s[0:1], 0x0                         // 000000001C08: C0060100 00000000
	s_load_dwordx2 s[8:9], s[0:1], 0x10                        // 000000001C10: C0060200 00000010
	s_load_dwordx2 s[12:13], s[0:1], 0x20                      // 000000001C18: C0060300 00000020
	s_load_dword s16, s[0:1], 0x30                             // 000000001C20: C0020400 00000030
	s_load_dword s17, s[0:1], 0x40                             // 000000001C28: C0020440 00000040
	s_load_dword s18, s[0:1], 0x50                             // 000000001C30: C0020480 00000050
	s_load_dword s50, s[0:1], 0x60                             // 000000001C38: C0020C80 00000060
	s_load_dword s51, s[0:1], 0x70                             // 000000001C40: C0020CC0 00000070
	v_lshrrev_b32_e32 v1, 10, v0                               // 000000001C48: 2002008A
	v_lshrrev_b32_e32 v2, 10, v1                               // 000000001C4C: 2004028A
	v_and_b32_e32 v2, 0x3ff, v2                                // 000000001C50: 260404FF 000003FF
	v_and_b32_e32 v1, 0x3ff, v1                                // 000000001C58: 260202FF 000003FF
	v_and_b32_e32 v0, 0x3ff, v0                                // 000000001C60: 260000FF 000003FF
	v_lshrrev_b32_e32 v3, 6, v0                                // 000000001C68: 20060086
	v_and_b32_e32 v0, 63, v0                                   // 000000001C6C: 260000BF
	s_mov_b32 s19, s2                                          // 000000001C70: BE930002
	v_readfirstlane_b32 s48, v3                                // 000000001C74: 7E600503
	s_waitcnt lgkmcnt(0)                                       // 000000001C78: BF8CC07F
	s_mov_b32 s6, -16                                          // 000000001C7C: BE8600D0
	s_mov_b32 s10, -16                                         // 000000001C80: BE8A00D0
	s_mov_b32 s14, -16                                         // 000000001C84: BE8E00D0
	s_mov_b32 s7, 0x20000                                      // 000000001C88: BE8700FF 00020000
	s_mov_b32 s11, 0x20000                                     // 000000001C90: BE8B00FF 00020000
	s_mov_b32 s15, 0x20000                                     // 000000001C98: BE8F00FF 00020000
	s_and_b32 s5, s5, 0xffff                                   // 000000001CA0: 8605FF05 0000FFFF
	s_and_b32 s9, s9, 0xffff                                   // 000000001CA8: 8609FF09 0000FFFF
	s_and_b32 s13, s13, 0xffff                                 // 000000001CB0: 860DFF0D 0000FFFF
	s_or_b32 s5, s5, 0x40000                                   // 000000001CB8: 8705FF05 00040000
	s_or_b32 s9, s9, 0x40000                                   // 000000001CC0: 8709FF09 00040000
	s_or_b32 s13, s13, 0x40000                                 // 000000001CC8: 870DFF0D 00040000
	s_mul_i32 s20, s16, s17                                    // 000000001CD0: 92141110
	s_mul_i32 s20, s20, 2                                      // 000000001CD4: 92148214
	s_mov_b32 s14, s20                                         // 000000001CD8: BE8E0014
	v_lshlrev_b32_e32 v8, 1, v0                                // 000000001CDC: 24100081
	s_mul_i32 s20, s17, 2                                      // 000000001CE0: 92148211
	s_mul_i32 s21, s19, 4                                      // 000000001CE4: 92158413
	s_add_i32 s21, s21, s48                                    // 000000001CE8: 81153015
	s_mul_i32 s20, s20, s21                                    // 000000001CEC: 92141514
	v_add_u32_e32 v8, s20, v8                                  // 000000001CF0: 68101014
	buffer_load_short_d16 v11, v8, s[12:15], 0 offen           // 000000001CF4: E0901000 80030B08
	buffer_load_short_d16 v12, v8, s[12:15], 0 offen offset:128// 000000001CFC: E0901080 80030C08
	v_mov_b32_e32 v15, 0                                       // 000000001D04: 7E1E0280
	v_mov_b32_e32 v16, 0                                       // 000000001D08: 7E200280
	v_mov_b32_e32 v17, 0                                       // 000000001D0C: 7E220280
	v_mov_b32_e32 v18, 0                                       // 000000001D10: 7E240280
	v_mov_b32_e32 v13, 0                                       // 000000001D14: 7E1A0280
	v_mov_b32_e32 v14, 0                                       // 000000001D18: 7E1C0280
	v_mov_b32_e32 v19, 0                                       // 000000001D1C: 7E260280
	s_mov_b32 s18, 8                                           // 000000001D20: BE920088
	v_lshlrev_b32_e32 v9, 2, v0                                // 000000001D24: 24120082
	s_mov_b32 s20, s51                                         // 000000001D28: BE940033
	s_mul_i32 s21, s19, 4                                      // 000000001D2C: 92158413
	s_add_i32 s21, s21, s48                                    // 000000001D30: 81153015
	s_mul_i32 s20, s20, s21                                    // 000000001D34: 92141514
	v_add_u32_e32 v9, s20, v9                                  // 000000001D38: 68121214
	v_mov_b32_e32 v10, v9                                      // 000000001D3C: 7E140309
	s_mul_i32 s20, s16, s51                                    // 000000001D40: 92143310
	s_mov_b32 s6, s20                                          // 000000001D44: BE860014
	s_mov_b32 s10, s20                                         // 000000001D48: BE8A0014
	s_mov_b32 s49, 0x3fb8aa3b                                  // 000000001D4C: BEB100FF 3FB8AA3B
	s_mov_b32 s32, 0                                           // 000000001D54: BEA00080
	s_mov_b32 s40, 1                                           // 000000001D58: BEA80081
	s_mov_b32 s33, 0                                           // 000000001D5C: BEA10080
	s_mov_b32 s41, 1                                           // 000000001D60: BEA90081
	s_mov_b32 s34, 0                                           // 000000001D64: BEA20080
	s_mov_b32 s42, 1                                           // 000000001D68: BEAA0081
	s_mov_b32 s35, 0                                           // 000000001D6C: BEA30080
	s_mov_b32 s43, 1                                           // 000000001D70: BEAB0081
	s_mov_b32 s36, 0                                           // 000000001D74: BEA40080
	s_mov_b32 s44, 1                                           // 000000001D78: BEAC0081
	s_mov_b32 s37, 0                                           // 000000001D7C: BEA50080
	s_mov_b32 s45, 1                                           // 000000001D80: BEAD0081
	s_mov_b32 s38, 0                                           // 000000001D84: BEA60080
	s_mov_b32 s46, 1                                           // 000000001D88: BEAE0081
	s_mov_b32 s39, 0                                           // 000000001D8C: BEA70080
	s_mov_b32 s47, 1                                           // 000000001D90: BEAF0081
	s_waitcnt vmcnt(0) expcnt(0) lgkmcnt(0)                    // 000000001D94: BF8C0000
	v_lshlrev_b32_e32 v11, 16, v11                             // 000000001D98: 24161690
	v_lshlrev_b32_e32 v12, 16, v12                             // 000000001D9C: 24181890
	v_mul_f32_e64 v11, v11, s49                                // 000000001DA0: D105000B 0000630B
	v_exp_f32_e32 v11, v11                                     // 000000001DA8: 7E16410B
	v_mul_f32_e64 v12, v12, s49                                // 000000001DAC: D105000C 0000630C
	v_exp_f32_e32 v12, v12                                     // 000000001DB4: 7E18410C
	s_nop 0                                                    // 000000001DB8: BF800000
	v_add_f32_e32 v15, v15, v11                                // 000000001DBC: 021E170F
	v_add_f32_e32 v15, v15, v12                                // 000000001DC0: 021E190F
	s_nop 1                                                    // 000000001DC4: BF800001
	v_add_f32_dpp v4, v15, v15 quad_perm:[1,0,3,2] row_mask:0xf bank_mask:0xf// 000000001DC8: 02081EFA FF00B10F
	s_nop 1                                                    // 000000001DD0: BF800001
	v_add_f32_dpp v4, v4, v4 quad_perm:[2,3,0,1] row_mask:0xf bank_mask:0xf// 000000001DD4: 020808FA FF004E04
	s_nop 1                                                    // 000000001DDC: BF800001
	v_add_f32_dpp v4, v4, v4 row_shr:4 row_mask:0xf bank_mask:0xf// 000000001DE0: 020808FA FF011404
	s_nop 1                                                    // 000000001DE8: BF800001
	v_add_f32_dpp v4, v4, v4 row_shr:8 row_mask:0xf bank_mask:0xf// 000000001DEC: 020808FA FF011804
	s_nop 1                                                    // 000000001DF4: BF800001
	v_add_f32_dpp v4, v4, v4 row_bcast:15 row_mask:0xf bank_mask:0xf// 000000001DF8: 020808FA FF014204
	s_nop 1                                                    // 000000001E00: BF800001
	v_add_f32_dpp v4, v4, v4 row_bcast:31 row_mask:0xf bank_mask:0xf// 000000001E04: 020808FA FF014304
	s_nop 0                                                    // 000000001E0C: BF800000
	v_readlane_b32 s20, v4, 63                                 // 000000001E10: D2890014 00017F04
	v_mov_b32_e32 v16, s20                                     // 000000001E18: 7E200214
	v_rcp_f32_e32 v15, v16                                     // 000000001E1C: 7E1E4510
	s_nop 0                                                    // 000000001E20: BF800000
	v_mul_f32_e32 v11, v11, v15                                // 000000001E24: 0A161F0B
	v_mul_f32_e32 v12, v12, v15                                // 000000001E28: 0A181F0C
	s_cmp_eq_u32 s50, 0                                        // 000000001E2C: BF068032
	s_cbranch_scc0 label_022B                                  // 000000001E30: BF84019E
	v_max_f32_e32 v17, v11, v12                                // 000000001E34: 1622190B
	s_nop 1                                                    // 000000001E38: BF800001
	v_max_f32_dpp v4, v17, v17 quad_perm:[1,0,3,2] row_mask:0xf bank_mask:0xf// 000000001E3C: 160822FA FF00B111
	s_nop 1                                                    // 000000001E44: BF800001
	v_max_f32_dpp v4, v4, v4 quad_perm:[2,3,0,1] row_mask:0xf bank_mask:0xf// 000000001E48: 160808FA FF004E04
	s_nop 1                                                    // 000000001E50: BF800001
	v_max_f32_dpp v4, v4, v4 row_shr:4 row_mask:0xf bank_mask:0xf// 000000001E54: 160808FA FF011404
	s_nop 1                                                    // 000000001E5C: BF800001
	v_max_f32_dpp v4, v4, v4 row_shr:8 row_mask:0xf bank_mask:0xf// 000000001E60: 160808FA FF011804
	s_nop 1                                                    // 000000001E68: BF800001
	v_max_f32_dpp v4, v4, v4 row_bcast:15 row_mask:0xf bank_mask:0xf// 000000001E6C: 160808FA FF014204
	s_nop 1                                                    // 000000001E74: BF800001
	v_max_f32_dpp v4, v4, v4 row_bcast:31 row_mask:0xf bank_mask:0xf// 000000001E78: 160808FA FF014304
	s_nop 0                                                    // 000000001E80: BF800000
	v_readlane_b32 s20, v4, 63                                 // 000000001E84: D2890014 00017F04
	v_mov_b32_e32 v17, s20                                     // 000000001E8C: 7E220214
	v_cmp_eq_f32_e64 s[24:25], v17, v11                        // 000000001E90: D0420018 00021711
	v_cmp_eq_f32_e64 s[26:27], v17, v12                        // 000000001E98: D042001A 00021911
	s_ff1_i32_b64 s28, s[24:25]                                // 000000001EA0: BE9C1118
	s_ff1_i32_b64 s29, s[26:27]                                // 000000001EA4: BE9D111A
	v_readlane_b32 s20, v17, 0                                 // 000000001EA8: D2890014 00010111
	v_writelane_b32 v14, s20, 0                                // 000000001EB0: D28A000E 00010014
	s_mov_b32 s22, s28                                         // 000000001EB8: BE96001C
	s_cmp_eq_u32 s28, -1                                       // 000000001EBC: BF06C11C
	s_cselect_b32 s21, 1, 0                                    // 000000001EC0: 85158081
	s_cbranch_scc0 label_00B8                                  // 000000001EC4: BF840006
	s_add_u32 s32, s21, s32                                    // 000000001EC8: 80202015
	s_mov_b32 s22, s29                                         // 000000001ECC: BE96001D
	s_cmp_eq_u32 s29, -1                                       // 000000001ED0: BF06C11D
	s_cselect_b32 s21, 1, 0                                    // 000000001ED4: 85158081
	s_cbranch_scc0 label_00B8                                  // 000000001ED8: BF840001
	s_add_u32 s32, s21, s32                                    // 000000001EDC: 80202015

0000000000001ee0 <label_00B8>:
	s_set_gpr_idx_on s32, gpr_idx(DST)                         // 000000001EE0: BF110820
	v_writelane_b32 v11, 0, s22                                // 000000001EE4: D28A000B 00002C80
	s_set_gpr_idx_off                                          // 000000001EEC: BF9C0000
	s_mul_i32 s32, 64, s32                                     // 000000001EF0: 922020C0
	s_add_u32 s32, s22, s32                                    // 000000001EF4: 80202016
	v_writelane_b32 v13, s32, 0                                // 000000001EF8: D28A000D 00010020
	v_max_f32_e32 v17, v11, v12                                // 000000001F00: 1622190B
	s_nop 1                                                    // 000000001F04: BF800001
	v_max_f32_dpp v4, v17, v17 quad_perm:[1,0,3,2] row_mask:0xf bank_mask:0xf// 000000001F08: 160822FA FF00B111
	s_nop 1                                                    // 000000001F10: BF800001
	v_max_f32_dpp v4, v4, v4 quad_perm:[2,3,0,1] row_mask:0xf bank_mask:0xf// 000000001F14: 160808FA FF004E04
	s_nop 1                                                    // 000000001F1C: BF800001
	v_max_f32_dpp v4, v4, v4 row_shr:4 row_mask:0xf bank_mask:0xf// 000000001F20: 160808FA FF011404
	s_nop 1                                                    // 000000001F28: BF800001
	v_max_f32_dpp v4, v4, v4 row_shr:8 row_mask:0xf bank_mask:0xf// 000000001F2C: 160808FA FF011804
	s_nop 1                                                    // 000000001F34: BF800001
	v_max_f32_dpp v4, v4, v4 row_bcast:15 row_mask:0xf bank_mask:0xf// 000000001F38: 160808FA FF014204
	s_nop 1                                                    // 000000001F40: BF800001
	v_max_f32_dpp v4, v4, v4 row_bcast:31 row_mask:0xf bank_mask:0xf// 000000001F44: 160808FA FF014304
	s_nop 0                                                    // 000000001F4C: BF800000
	v_readlane_b32 s20, v4, 63                                 // 000000001F50: D2890014 00017F04
	v_mov_b32_e32 v17, s20                                     // 000000001F58: 7E220214
	v_cmp_eq_f32_e64 s[24:25], v17, v11                        // 000000001F5C: D0420018 00021711
	v_cmp_eq_f32_e64 s[26:27], v17, v12                        // 000000001F64: D042001A 00021911
	s_ff1_i32_b64 s28, s[24:25]                                // 000000001F6C: BE9C1118
	s_ff1_i32_b64 s29, s[26:27]                                // 000000001F70: BE9D111A
	v_readlane_b32 s20, v17, 0                                 // 000000001F74: D2890014 00010111
	v_writelane_b32 v14, s20, 1                                // 000000001F7C: D28A000E 00010214
	s_mov_b32 s22, s28                                         // 000000001F84: BE96001C
	s_cmp_eq_u32 s28, -1                                       // 000000001F88: BF06C11C
	s_cselect_b32 s21, 1, 0                                    // 000000001F8C: 85158081
	s_cbranch_scc0 label_00EB                                  // 000000001F90: BF840006
	s_add_u32 s33, s21, s33                                    // 000000001F94: 80212115
	s_mov_b32 s22, s29                                         // 000000001F98: BE96001D
	s_cmp_eq_u32 s29, -1                                       // 000000001F9C: BF06C11D
	s_cselect_b32 s21, 1, 0                                    // 000000001FA0: 85158081
	s_cbranch_scc0 label_00EB                                  // 000000001FA4: BF840001
	s_add_u32 s33, s21, s33                                    // 000000001FA8: 80212115

0000000000001fac <label_00EB>:
	s_set_gpr_idx_on s33, gpr_idx(DST)                         // 000000001FAC: BF110821
	v_writelane_b32 v11, 0, s22                                // 000000001FB0: D28A000B 00002C80
	s_set_gpr_idx_off                                          // 000000001FB8: BF9C0000
	s_mul_i32 s33, 64, s33                                     // 000000001FBC: 922121C0
	s_add_u32 s33, s22, s33                                    // 000000001FC0: 80212116
	v_writelane_b32 v13, s33, 1                                // 000000001FC4: D28A000D 00010221
	v_max_f32_e32 v17, v11, v12                                // 000000001FCC: 1622190B
	s_nop 1                                                    // 000000001FD0: BF800001
	v_max_f32_dpp v4, v17, v17 quad_perm:[1,0,3,2] row_mask:0xf bank_mask:0xf// 000000001FD4: 160822FA FF00B111
	s_nop 1                                                    // 000000001FDC: BF800001
	v_max_f32_dpp v4, v4, v4 quad_perm:[2,3,0,1] row_mask:0xf bank_mask:0xf// 000000001FE0: 160808FA FF004E04
	s_nop 1                                                    // 000000001FE8: BF800001
	v_max_f32_dpp v4, v4, v4 row_shr:4 row_mask:0xf bank_mask:0xf// 000000001FEC: 160808FA FF011404
	s_nop 1                                                    // 000000001FF4: BF800001
	v_max_f32_dpp v4, v4, v4 row_shr:8 row_mask:0xf bank_mask:0xf// 000000001FF8: 160808FA FF011804
	s_nop 1                                                    // 000000002000: BF800001
	v_max_f32_dpp v4, v4, v4 row_bcast:15 row_mask:0xf bank_mask:0xf// 000000002004: 160808FA FF014204
	s_nop 1                                                    // 00000000200C: BF800001
	v_max_f32_dpp v4, v4, v4 row_bcast:31 row_mask:0xf bank_mask:0xf// 000000002010: 160808FA FF014304
	s_nop 0                                                    // 000000002018: BF800000
	v_readlane_b32 s20, v4, 63                                 // 00000000201C: D2890014 00017F04
	v_mov_b32_e32 v17, s20                                     // 000000002024: 7E220214
	v_cmp_eq_f32_e64 s[24:25], v17, v11                        // 000000002028: D0420018 00021711
	v_cmp_eq_f32_e64 s[26:27], v17, v12                        // 000000002030: D042001A 00021911
	s_ff1_i32_b64 s28, s[24:25]                                // 000000002038: BE9C1118
	s_ff1_i32_b64 s29, s[26:27]                                // 00000000203C: BE9D111A
	v_readlane_b32 s20, v17, 0                                 // 000000002040: D2890014 00010111
	v_writelane_b32 v14, s20, 2                                // 000000002048: D28A000E 00010414
	s_mov_b32 s22, s28                                         // 000000002050: BE96001C
	s_cmp_eq_u32 s28, -1                                       // 000000002054: BF06C11C
	s_cselect_b32 s21, 1, 0                                    // 000000002058: 85158081
	s_cbranch_scc0 label_011E                                  // 00000000205C: BF840006
	s_add_u32 s34, s21, s34                                    // 000000002060: 80222215
	s_mov_b32 s22, s29                                         // 000000002064: BE96001D
	s_cmp_eq_u32 s29, -1                                       // 000000002068: BF06C11D
	s_cselect_b32 s21, 1, 0                                    // 00000000206C: 85158081
	s_cbranch_scc0 label_011E                                  // 000000002070: BF840001
	s_add_u32 s34, s21, s34                                    // 000000002074: 80222215

0000000000002078 <label_011E>:
	s_set_gpr_idx_on s34, gpr_idx(DST)                         // 000000002078: BF110822
	v_writelane_b32 v11, 0, s22                                // 00000000207C: D28A000B 00002C80
	s_set_gpr_idx_off                                          // 000000002084: BF9C0000
	s_mul_i32 s34, 64, s34                                     // 000000002088: 922222C0
	s_add_u32 s34, s22, s34                                    // 00000000208C: 80222216
	v_writelane_b32 v13, s34, 2                                // 000000002090: D28A000D 00010422
	v_max_f32_e32 v17, v11, v12                                // 000000002098: 1622190B
	s_nop 1                                                    // 00000000209C: BF800001
	v_max_f32_dpp v4, v17, v17 quad_perm:[1,0,3,2] row_mask:0xf bank_mask:0xf// 0000000020A0: 160822FA FF00B111
	s_nop 1                                                    // 0000000020A8: BF800001
	v_max_f32_dpp v4, v4, v4 quad_perm:[2,3,0,1] row_mask:0xf bank_mask:0xf// 0000000020AC: 160808FA FF004E04
	s_nop 1                                                    // 0000000020B4: BF800001
	v_max_f32_dpp v4, v4, v4 row_shr:4 row_mask:0xf bank_mask:0xf// 0000000020B8: 160808FA FF011404
	s_nop 1                                                    // 0000000020C0: BF800001
	v_max_f32_dpp v4, v4, v4 row_shr:8 row_mask:0xf bank_mask:0xf// 0000000020C4: 160808FA FF011804
	s_nop 1                                                    // 0000000020CC: BF800001
	v_max_f32_dpp v4, v4, v4 row_bcast:15 row_mask:0xf bank_mask:0xf// 0000000020D0: 160808FA FF014204
	s_nop 1                                                    // 0000000020D8: BF800001
	v_max_f32_dpp v4, v4, v4 row_bcast:31 row_mask:0xf bank_mask:0xf// 0000000020DC: 160808FA FF014304
	s_nop 0                                                    // 0000000020E4: BF800000
	v_readlane_b32 s20, v4, 63                                 // 0000000020E8: D2890014 00017F04
	v_mov_b32_e32 v17, s20                                     // 0000000020F0: 7E220214
	v_cmp_eq_f32_e64 s[24:25], v17, v11                        // 0000000020F4: D0420018 00021711
	v_cmp_eq_f32_e64 s[26:27], v17, v12                        // 0000000020FC: D042001A 00021911
	s_ff1_i32_b64 s28, s[24:25]                                // 000000002104: BE9C1118
	s_ff1_i32_b64 s29, s[26:27]                                // 000000002108: BE9D111A
	v_readlane_b32 s20, v17, 0                                 // 00000000210C: D2890014 00010111
	v_writelane_b32 v14, s20, 3                                // 000000002114: D28A000E 00010614
	s_mov_b32 s22, s28                                         // 00000000211C: BE96001C
	s_cmp_eq_u32 s28, -1                                       // 000000002120: BF06C11C
	s_cselect_b32 s21, 1, 0                                    // 000000002124: 85158081
	s_cbranch_scc0 label_0151                                  // 000000002128: BF840006
	s_add_u32 s35, s21, s35                                    // 00000000212C: 80232315
	s_mov_b32 s22, s29                                         // 000000002130: BE96001D
	s_cmp_eq_u32 s29, -1                                       // 000000002134: BF06C11D
	s_cselect_b32 s21, 1, 0                                    // 000000002138: 85158081
	s_cbranch_scc0 label_0151                                  // 00000000213C: BF840001
	s_add_u32 s35, s21, s35                                    // 000000002140: 80232315

0000000000002144 <label_0151>:
	s_set_gpr_idx_on s35, gpr_idx(DST)                         // 000000002144: BF110823
	v_writelane_b32 v11, 0, s22                                // 000000002148: D28A000B 00002C80
	s_set_gpr_idx_off                                          // 000000002150: BF9C0000
	s_mul_i32 s35, 64, s35                                     // 000000002154: 922323C0
	s_add_u32 s35, s22, s35                                    // 000000002158: 80232316
	v_writelane_b32 v13, s35, 3                                // 00000000215C: D28A000D 00010623
	v_max_f32_e32 v17, v11, v12                                // 000000002164: 1622190B
	s_nop 1                                                    // 000000002168: BF800001
	v_max_f32_dpp v4, v17, v17 quad_perm:[1,0,3,2] row_mask:0xf bank_mask:0xf// 00000000216C: 160822FA FF00B111
	s_nop 1                                                    // 000000002174: BF800001
	v_max_f32_dpp v4, v4, v4 quad_perm:[2,3,0,1] row_mask:0xf bank_mask:0xf// 000000002178: 160808FA FF004E04
	s_nop 1                                                    // 000000002180: BF800001
	v_max_f32_dpp v4, v4, v4 row_shr:4 row_mask:0xf bank_mask:0xf// 000000002184: 160808FA FF011404
	s_nop 1                                                    // 00000000218C: BF800001
	v_max_f32_dpp v4, v4, v4 row_shr:8 row_mask:0xf bank_mask:0xf// 000000002190: 160808FA FF011804
	s_nop 1                                                    // 000000002198: BF800001
	v_max_f32_dpp v4, v4, v4 row_bcast:15 row_mask:0xf bank_mask:0xf// 00000000219C: 160808FA FF014204
	s_nop 1                                                    // 0000000021A4: BF800001
	v_max_f32_dpp v4, v4, v4 row_bcast:31 row_mask:0xf bank_mask:0xf// 0000000021A8: 160808FA FF014304
	s_nop 0                                                    // 0000000021B0: BF800000
	v_readlane_b32 s20, v4, 63                                 // 0000000021B4: D2890014 00017F04
	v_mov_b32_e32 v17, s20                                     // 0000000021BC: 7E220214
	v_cmp_eq_f32_e64 s[24:25], v17, v11                        // 0000000021C0: D0420018 00021711
	v_cmp_eq_f32_e64 s[26:27], v17, v12                        // 0000000021C8: D042001A 00021911
	s_ff1_i32_b64 s28, s[24:25]                                // 0000000021D0: BE9C1118
	s_ff1_i32_b64 s29, s[26:27]                                // 0000000021D4: BE9D111A
	v_readlane_b32 s20, v17, 0                                 // 0000000021D8: D2890014 00010111
	v_writelane_b32 v14, s20, 4                                // 0000000021E0: D28A000E 00010814
	s_mov_b32 s22, s28                                         // 0000000021E8: BE96001C
	s_cmp_eq_u32 s28, -1                                       // 0000000021EC: BF06C11C
	s_cselect_b32 s21, 1, 0                                    // 0000000021F0: 85158081
	s_cbranch_scc0 label_0184                                  // 0000000021F4: BF840006
	s_add_u32 s36, s21, s36                                    // 0000000021F8: 80242415
	s_mov_b32 s22, s29                                         // 0000000021FC: BE96001D
	s_cmp_eq_u32 s29, -1                                       // 000000002200: BF06C11D
	s_cselect_b32 s21, 1, 0                                    // 000000002204: 85158081
	s_cbranch_scc0 label_0184                                  // 000000002208: BF840001
	s_add_u32 s36, s21, s36                                    // 00000000220C: 80242415

0000000000002210 <label_0184>:
	s_set_gpr_idx_on s36, gpr_idx(DST)                         // 000000002210: BF110824
	v_writelane_b32 v11, 0, s22                                // 000000002214: D28A000B 00002C80
	s_set_gpr_idx_off                                          // 00000000221C: BF9C0000
	s_mul_i32 s36, 64, s36                                     // 000000002220: 922424C0
	s_add_u32 s36, s22, s36                                    // 000000002224: 80242416
	v_writelane_b32 v13, s36, 4                                // 000000002228: D28A000D 00010824
	v_max_f32_e32 v17, v11, v12                                // 000000002230: 1622190B
	s_nop 1                                                    // 000000002234: BF800001
	v_max_f32_dpp v4, v17, v17 quad_perm:[1,0,3,2] row_mask:0xf bank_mask:0xf// 000000002238: 160822FA FF00B111
	s_nop 1                                                    // 000000002240: BF800001
	v_max_f32_dpp v4, v4, v4 quad_perm:[2,3,0,1] row_mask:0xf bank_mask:0xf// 000000002244: 160808FA FF004E04
	s_nop 1                                                    // 00000000224C: BF800001
	v_max_f32_dpp v4, v4, v4 row_shr:4 row_mask:0xf bank_mask:0xf// 000000002250: 160808FA FF011404
	s_nop 1                                                    // 000000002258: BF800001
	v_max_f32_dpp v4, v4, v4 row_shr:8 row_mask:0xf bank_mask:0xf// 00000000225C: 160808FA FF011804
	s_nop 1                                                    // 000000002264: BF800001
	v_max_f32_dpp v4, v4, v4 row_bcast:15 row_mask:0xf bank_mask:0xf// 000000002268: 160808FA FF014204
	s_nop 1                                                    // 000000002270: BF800001
	v_max_f32_dpp v4, v4, v4 row_bcast:31 row_mask:0xf bank_mask:0xf// 000000002274: 160808FA FF014304
	s_nop 0                                                    // 00000000227C: BF800000
	v_readlane_b32 s20, v4, 63                                 // 000000002280: D2890014 00017F04
	v_mov_b32_e32 v17, s20                                     // 000000002288: 7E220214
	v_cmp_eq_f32_e64 s[24:25], v17, v11                        // 00000000228C: D0420018 00021711
	v_cmp_eq_f32_e64 s[26:27], v17, v12                        // 000000002294: D042001A 00021911
	s_ff1_i32_b64 s28, s[24:25]                                // 00000000229C: BE9C1118
	s_ff1_i32_b64 s29, s[26:27]                                // 0000000022A0: BE9D111A
	v_readlane_b32 s20, v17, 0                                 // 0000000022A4: D2890014 00010111
	v_writelane_b32 v14, s20, 5                                // 0000000022AC: D28A000E 00010A14
	s_mov_b32 s22, s28                                         // 0000000022B4: BE96001C
	s_cmp_eq_u32 s28, -1                                       // 0000000022B8: BF06C11C
	s_cselect_b32 s21, 1, 0                                    // 0000000022BC: 85158081
	s_cbranch_scc0 label_01B7                                  // 0000000022C0: BF840006
	s_add_u32 s37, s21, s37                                    // 0000000022C4: 80252515
	s_mov_b32 s22, s29                                         // 0000000022C8: BE96001D
	s_cmp_eq_u32 s29, -1                                       // 0000000022CC: BF06C11D
	s_cselect_b32 s21, 1, 0                                    // 0000000022D0: 85158081
	s_cbranch_scc0 label_01B7                                  // 0000000022D4: BF840001
	s_add_u32 s37, s21, s37                                    // 0000000022D8: 80252515

00000000000022dc <label_01B7>:
	s_set_gpr_idx_on s37, gpr_idx(DST)                         // 0000000022DC: BF110825
	v_writelane_b32 v11, 0, s22                                // 0000000022E0: D28A000B 00002C80
	s_set_gpr_idx_off                                          // 0000000022E8: BF9C0000
	s_mul_i32 s37, 64, s37                                     // 0000000022EC: 922525C0
	s_add_u32 s37, s22, s37                                    // 0000000022F0: 80252516
	v_writelane_b32 v13, s37, 5                                // 0000000022F4: D28A000D 00010A25
	v_max_f32_e32 v17, v11, v12                                // 0000000022FC: 1622190B
	s_nop 1                                                    // 000000002300: BF800001
	v_max_f32_dpp v4, v17, v17 quad_perm:[1,0,3,2] row_mask:0xf bank_mask:0xf// 000000002304: 160822FA FF00B111
	s_nop 1                                                    // 00000000230C: BF800001
	v_max_f32_dpp v4, v4, v4 quad_perm:[2,3,0,1] row_mask:0xf bank_mask:0xf// 000000002310: 160808FA FF004E04
	s_nop 1                                                    // 000000002318: BF800001
	v_max_f32_dpp v4, v4, v4 row_shr:4 row_mask:0xf bank_mask:0xf// 00000000231C: 160808FA FF011404
	s_nop 1                                                    // 000000002324: BF800001
	v_max_f32_dpp v4, v4, v4 row_shr:8 row_mask:0xf bank_mask:0xf// 000000002328: 160808FA FF011804
	s_nop 1                                                    // 000000002330: BF800001
	v_max_f32_dpp v4, v4, v4 row_bcast:15 row_mask:0xf bank_mask:0xf// 000000002334: 160808FA FF014204
	s_nop 1                                                    // 00000000233C: BF800001
	v_max_f32_dpp v4, v4, v4 row_bcast:31 row_mask:0xf bank_mask:0xf// 000000002340: 160808FA FF014304
	s_nop 0                                                    // 000000002348: BF800000
	v_readlane_b32 s20, v4, 63                                 // 00000000234C: D2890014 00017F04
	v_mov_b32_e32 v17, s20                                     // 000000002354: 7E220214
	v_cmp_eq_f32_e64 s[24:25], v17, v11                        // 000000002358: D0420018 00021711
	v_cmp_eq_f32_e64 s[26:27], v17, v12                        // 000000002360: D042001A 00021911
	s_ff1_i32_b64 s28, s[24:25]                                // 000000002368: BE9C1118
	s_ff1_i32_b64 s29, s[26:27]                                // 00000000236C: BE9D111A
	v_readlane_b32 s20, v17, 0                                 // 000000002370: D2890014 00010111
	v_writelane_b32 v14, s20, 6                                // 000000002378: D28A000E 00010C14
	s_mov_b32 s22, s28                                         // 000000002380: BE96001C
	s_cmp_eq_u32 s28, -1                                       // 000000002384: BF06C11C
	s_cselect_b32 s21, 1, 0                                    // 000000002388: 85158081
	s_cbranch_scc0 label_01EA                                  // 00000000238C: BF840006
	s_add_u32 s38, s21, s38                                    // 000000002390: 80262615
	s_mov_b32 s22, s29                                         // 000000002394: BE96001D
	s_cmp_eq_u32 s29, -1                                       // 000000002398: BF06C11D
	s_cselect_b32 s21, 1, 0                                    // 00000000239C: 85158081
	s_cbranch_scc0 label_01EA                                  // 0000000023A0: BF840001
	s_add_u32 s38, s21, s38                                    // 0000000023A4: 80262615

00000000000023a8 <label_01EA>:
	s_set_gpr_idx_on s38, gpr_idx(DST)                         // 0000000023A8: BF110826
	v_writelane_b32 v11, 0, s22                                // 0000000023AC: D28A000B 00002C80
	s_set_gpr_idx_off                                          // 0000000023B4: BF9C0000
	s_mul_i32 s38, 64, s38                                     // 0000000023B8: 922626C0
	s_add_u32 s38, s22, s38                                    // 0000000023BC: 80262616
	v_writelane_b32 v13, s38, 6                                // 0000000023C0: D28A000D 00010C26
	v_max_f32_e32 v17, v11, v12                                // 0000000023C8: 1622190B
	s_nop 1                                                    // 0000000023CC: BF800001
	v_max_f32_dpp v4, v17, v17 quad_perm:[1,0,3,2] row_mask:0xf bank_mask:0xf// 0000000023D0: 160822FA FF00B111
	s_nop 1                                                    // 0000000023D8: BF800001
	v_max_f32_dpp v4, v4, v4 quad_perm:[2,3,0,1] row_mask:0xf bank_mask:0xf// 0000000023DC: 160808FA FF004E04
	s_nop 1                                                    // 0000000023E4: BF800001
	v_max_f32_dpp v4, v4, v4 row_shr:4 row_mask:0xf bank_mask:0xf// 0000000023E8: 160808FA FF011404
	s_nop 1                                                    // 0000000023F0: BF800001
	v_max_f32_dpp v4, v4, v4 row_shr:8 row_mask:0xf bank_mask:0xf// 0000000023F4: 160808FA FF011804
	s_nop 1                                                    // 0000000023FC: BF800001
	v_max_f32_dpp v4, v4, v4 row_bcast:15 row_mask:0xf bank_mask:0xf// 000000002400: 160808FA FF014204
	s_nop 1                                                    // 000000002408: BF800001
	v_max_f32_dpp v4, v4, v4 row_bcast:31 row_mask:0xf bank_mask:0xf// 00000000240C: 160808FA FF014304
	s_nop 0                                                    // 000000002414: BF800000
	v_readlane_b32 s20, v4, 63                                 // 000000002418: D2890014 00017F04
	v_mov_b32_e32 v17, s20                                     // 000000002420: 7E220214
	v_cmp_eq_f32_e64 s[24:25], v17, v11                        // 000000002424: D0420018 00021711
	v_cmp_eq_f32_e64 s[26:27], v17, v12                        // 00000000242C: D042001A 00021911
	s_ff1_i32_b64 s28, s[24:25]                                // 000000002434: BE9C1118
	s_ff1_i32_b64 s29, s[26:27]                                // 000000002438: BE9D111A
	v_readlane_b32 s20, v17, 0                                 // 00000000243C: D2890014 00010111
	v_writelane_b32 v14, s20, 7                                // 000000002444: D28A000E 00010E14
	s_mov_b32 s22, s28                                         // 00000000244C: BE96001C
	s_cmp_eq_u32 s28, -1                                       // 000000002450: BF06C11C
	s_cselect_b32 s21, 1, 0                                    // 000000002454: 85158081
	s_cbranch_scc0 label_021D                                  // 000000002458: BF840006
	s_add_u32 s39, s21, s39                                    // 00000000245C: 80272715
	s_mov_b32 s22, s29                                         // 000000002460: BE96001D
	s_cmp_eq_u32 s29, -1                                       // 000000002464: BF06C11D
	s_cselect_b32 s21, 1, 0                                    // 000000002468: 85158081
	s_cbranch_scc0 label_021D                                  // 00000000246C: BF840001
	s_add_u32 s39, s21, s39                                    // 000000002470: 80272715

0000000000002474 <label_021D>:
	s_set_gpr_idx_on s39, gpr_idx(DST)                         // 000000002474: BF110827
	v_writelane_b32 v11, 0, s22                                // 000000002478: D28A000B 00002C80
	s_set_gpr_idx_off                                          // 000000002480: BF9C0000
	s_mul_i32 s39, 64, s39                                     // 000000002484: 922727C0
	s_add_u32 s39, s22, s39                                    // 000000002488: 80272716
	v_writelane_b32 v13, s39, 7                                // 00000000248C: D28A000D 00010E27
	s_bfm_b64 exec, s18, 0                                     // 000000002494: 91FE8012
	buffer_store_dword v13, v9, s[4:7], 0 offen                // 000000002498: E0701000 80010D09
	buffer_store_dword v14, v10, s[8:11], 0 offen              // 0000000024A0: E0701000 80020E0A
	s_branch label_03D3                                        // 0000000024A8: BF8201A8

00000000000024ac <label_022B>:
	v_max_f32_e32 v17, v11, v12                                // 0000000024AC: 1622190B
	s_nop 1                                                    // 0000000024B0: BF800001
	v_max_f32_dpp v4, v17, v17 quad_perm:[1,0,3,2] row_mask:0xf bank_mask:0xf// 0000000024B4: 160822FA FF00B111
	s_nop 1                                                    // 0000000024BC: BF800001
	v_max_f32_dpp v4, v4, v4 quad_perm:[2,3,0,1] row_mask:0xf bank_mask:0xf// 0000000024C0: 160808FA FF004E04
	s_nop 1                                                    // 0000000024C8: BF800001
	v_max_f32_dpp v4, v4, v4 row_shr:4 row_mask:0xf bank_mask:0xf// 0000000024CC: 160808FA FF011404
	s_nop 1                                                    // 0000000024D4: BF800001
	v_max_f32_dpp v4, v4, v4 row_shr:8 row_mask:0xf bank_mask:0xf// 0000000024D8: 160808FA FF011804
	s_nop 1                                                    // 0000000024E0: BF800001
	v_max_f32_dpp v4, v4, v4 row_bcast:15 row_mask:0xf bank_mask:0xf// 0000000024E4: 160808FA FF014204
	s_nop 1                                                    // 0000000024EC: BF800001
	v_max_f32_dpp v4, v4, v4 row_bcast:31 row_mask:0xf bank_mask:0xf// 0000000024F0: 160808FA FF014304
	s_nop 0                                                    // 0000000024F8: BF800000
	v_readlane_b32 s20, v4, 63                                 // 0000000024FC: D2890014 00017F04
	v_mov_b32_e32 v17, s20                                     // 000000002504: 7E220214
	v_add_f32_e32 v19, v19, v17                                // 000000002508: 02262313
	v_cmp_eq_f32_e64 s[24:25], v17, v11                        // 00000000250C: D0420018 00021711
	v_cmp_eq_f32_e64 s[26:27], v17, v12                        // 000000002514: D042001A 00021911
	s_ff1_i32_b64 s28, s[24:25]                                // 00000000251C: BE9C1118
	s_ff1_i32_b64 s29, s[26:27]                                // 000000002520: BE9D111A
	v_readlane_b32 s20, v17, 0                                 // 000000002524: D2890014 00010111
	v_writelane_b32 v14, s20, 0                                // 00000000252C: D28A000E 00010014
	s_mov_b32 s22, s28                                         // 000000002534: BE96001C
	s_cmp_eq_u32 s28, -1                                       // 000000002538: BF06C11C
	s_cselect_b32 s21, 1, 0                                    // 00000000253C: 85158081
	s_cbranch_scc0 label_0257                                  // 000000002540: BF840006
	s_add_u32 s32, s21, s32                                    // 000000002544: 80202015
	s_mov_b32 s22, s29                                         // 000000002548: BE96001D
	s_cmp_eq_u32 s29, -1                                       // 00000000254C: BF06C11D
	s_cselect_b32 s21, 1, 0                                    // 000000002550: 85158081
	s_cbranch_scc0 label_0257                                  // 000000002554: BF840001
	s_add_u32 s32, s21, s32                                    // 000000002558: 80202015

000000000000255c <label_0257>:
	s_set_gpr_idx_on s32, gpr_idx(DST)                         // 00000000255C: BF110820
	v_writelane_b32 v11, 0, s22                                // 000000002560: D28A000B 00002C80
	s_set_gpr_idx_off                                          // 000000002568: BF9C0000
	s_mul_i32 s32, 64, s32                                     // 00000000256C: 922020C0
	s_add_u32 s32, s22, s32                                    // 000000002570: 80202016
	v_writelane_b32 v13, s32, 0                                // 000000002574: D28A000D 00010020
	v_max_f32_e32 v17, v11, v12                                // 00000000257C: 1622190B
	s_nop 1                                                    // 000000002580: BF800001
	v_max_f32_dpp v4, v17, v17 quad_perm:[1,0,3,2] row_mask:0xf bank_mask:0xf// 000000002584: 160822FA FF00B111
	s_nop 1                                                    // 00000000258C: BF800001
	v_max_f32_dpp v4, v4, v4 quad_perm:[2,3,0,1] row_mask:0xf bank_mask:0xf// 000000002590: 160808FA FF004E04
	s_nop 1                                                    // 000000002598: BF800001
	v_max_f32_dpp v4, v4, v4 row_shr:4 row_mask:0xf bank_mask:0xf// 00000000259C: 160808FA FF011404
	s_nop 1                                                    // 0000000025A4: BF800001
	v_max_f32_dpp v4, v4, v4 row_shr:8 row_mask:0xf bank_mask:0xf// 0000000025A8: 160808FA FF011804
	s_nop 1                                                    // 0000000025B0: BF800001
	v_max_f32_dpp v4, v4, v4 row_bcast:15 row_mask:0xf bank_mask:0xf// 0000000025B4: 160808FA FF014204
	s_nop 1                                                    // 0000000025BC: BF800001
	v_max_f32_dpp v4, v4, v4 row_bcast:31 row_mask:0xf bank_mask:0xf// 0000000025C0: 160808FA FF014304
	s_nop 0                                                    // 0000000025C8: BF800000
	v_readlane_b32 s20, v4, 63                                 // 0000000025CC: D2890014 00017F04
	v_mov_b32_e32 v17, s20                                     // 0000000025D4: 7E220214
	v_add_f32_e32 v19, v19, v17                                // 0000000025D8: 02262313
	v_cmp_eq_f32_e64 s[24:25], v17, v11                        // 0000000025DC: D0420018 00021711
	v_cmp_eq_f32_e64 s[26:27], v17, v12                        // 0000000025E4: D042001A 00021911
	s_ff1_i32_b64 s28, s[24:25]                                // 0000000025EC: BE9C1118
	s_ff1_i32_b64 s29, s[26:27]                                // 0000000025F0: BE9D111A
	v_readlane_b32 s20, v17, 0                                 // 0000000025F4: D2890014 00010111
	v_writelane_b32 v14, s20, 1                                // 0000000025FC: D28A000E 00010214
	s_mov_b32 s22, s28                                         // 000000002604: BE96001C
	s_cmp_eq_u32 s28, -1                                       // 000000002608: BF06C11C
	s_cselect_b32 s21, 1, 0                                    // 00000000260C: 85158081
	s_cbranch_scc0 label_028B                                  // 000000002610: BF840006
	s_add_u32 s33, s21, s33                                    // 000000002614: 80212115
	s_mov_b32 s22, s29                                         // 000000002618: BE96001D
	s_cmp_eq_u32 s29, -1                                       // 00000000261C: BF06C11D
	s_cselect_b32 s21, 1, 0                                    // 000000002620: 85158081
	s_cbranch_scc0 label_028B                                  // 000000002624: BF840001
	s_add_u32 s33, s21, s33                                    // 000000002628: 80212115

000000000000262c <label_028B>:
	s_set_gpr_idx_on s33, gpr_idx(DST)                         // 00000000262C: BF110821
	v_writelane_b32 v11, 0, s22                                // 000000002630: D28A000B 00002C80
	s_set_gpr_idx_off                                          // 000000002638: BF9C0000
	s_mul_i32 s33, 64, s33                                     // 00000000263C: 922121C0
	s_add_u32 s33, s22, s33                                    // 000000002640: 80212116
	v_writelane_b32 v13, s33, 1                                // 000000002644: D28A000D 00010221
	v_max_f32_e32 v17, v11, v12                                // 00000000264C: 1622190B
	s_nop 1                                                    // 000000002650: BF800001
	v_max_f32_dpp v4, v17, v17 quad_perm:[1,0,3,2] row_mask:0xf bank_mask:0xf// 000000002654: 160822FA FF00B111
	s_nop 1                                                    // 00000000265C: BF800001
	v_max_f32_dpp v4, v4, v4 quad_perm:[2,3,0,1] row_mask:0xf bank_mask:0xf// 000000002660: 160808FA FF004E04
	s_nop 1                                                    // 000000002668: BF800001
	v_max_f32_dpp v4, v4, v4 row_shr:4 row_mask:0xf bank_mask:0xf// 00000000266C: 160808FA FF011404
	s_nop 1                                                    // 000000002674: BF800001
	v_max_f32_dpp v4, v4, v4 row_shr:8 row_mask:0xf bank_mask:0xf// 000000002678: 160808FA FF011804
	s_nop 1                                                    // 000000002680: BF800001
	v_max_f32_dpp v4, v4, v4 row_bcast:15 row_mask:0xf bank_mask:0xf// 000000002684: 160808FA FF014204
	s_nop 1                                                    // 00000000268C: BF800001
	v_max_f32_dpp v4, v4, v4 row_bcast:31 row_mask:0xf bank_mask:0xf// 000000002690: 160808FA FF014304
	s_nop 0                                                    // 000000002698: BF800000
	v_readlane_b32 s20, v4, 63                                 // 00000000269C: D2890014 00017F04
	v_mov_b32_e32 v17, s20                                     // 0000000026A4: 7E220214
	v_add_f32_e32 v19, v19, v17                                // 0000000026A8: 02262313
	v_cmp_eq_f32_e64 s[24:25], v17, v11                        // 0000000026AC: D0420018 00021711
	v_cmp_eq_f32_e64 s[26:27], v17, v12                        // 0000000026B4: D042001A 00021911
	s_ff1_i32_b64 s28, s[24:25]                                // 0000000026BC: BE9C1118
	s_ff1_i32_b64 s29, s[26:27]                                // 0000000026C0: BE9D111A
	v_readlane_b32 s20, v17, 0                                 // 0000000026C4: D2890014 00010111
	v_writelane_b32 v14, s20, 2                                // 0000000026CC: D28A000E 00010414
	s_mov_b32 s22, s28                                         // 0000000026D4: BE96001C
	s_cmp_eq_u32 s28, -1                                       // 0000000026D8: BF06C11C
	s_cselect_b32 s21, 1, 0                                    // 0000000026DC: 85158081
	s_cbranch_scc0 label_02BF                                  // 0000000026E0: BF840006
	s_add_u32 s34, s21, s34                                    // 0000000026E4: 80222215
	s_mov_b32 s22, s29                                         // 0000000026E8: BE96001D
	s_cmp_eq_u32 s29, -1                                       // 0000000026EC: BF06C11D
	s_cselect_b32 s21, 1, 0                                    // 0000000026F0: 85158081
	s_cbranch_scc0 label_02BF                                  // 0000000026F4: BF840001
	s_add_u32 s34, s21, s34                                    // 0000000026F8: 80222215

00000000000026fc <label_02BF>:
	s_set_gpr_idx_on s34, gpr_idx(DST)                         // 0000000026FC: BF110822
	v_writelane_b32 v11, 0, s22                                // 000000002700: D28A000B 00002C80
	s_set_gpr_idx_off                                          // 000000002708: BF9C0000
	s_mul_i32 s34, 64, s34                                     // 00000000270C: 922222C0
	s_add_u32 s34, s22, s34                                    // 000000002710: 80222216
	v_writelane_b32 v13, s34, 2                                // 000000002714: D28A000D 00010422
	v_max_f32_e32 v17, v11, v12                                // 00000000271C: 1622190B
	s_nop 1                                                    // 000000002720: BF800001
	v_max_f32_dpp v4, v17, v17 quad_perm:[1,0,3,2] row_mask:0xf bank_mask:0xf// 000000002724: 160822FA FF00B111
	s_nop 1                                                    // 00000000272C: BF800001
	v_max_f32_dpp v4, v4, v4 quad_perm:[2,3,0,1] row_mask:0xf bank_mask:0xf// 000000002730: 160808FA FF004E04
	s_nop 1                                                    // 000000002738: BF800001
	v_max_f32_dpp v4, v4, v4 row_shr:4 row_mask:0xf bank_mask:0xf// 00000000273C: 160808FA FF011404
	s_nop 1                                                    // 000000002744: BF800001
	v_max_f32_dpp v4, v4, v4 row_shr:8 row_mask:0xf bank_mask:0xf// 000000002748: 160808FA FF011804
	s_nop 1                                                    // 000000002750: BF800001
	v_max_f32_dpp v4, v4, v4 row_bcast:15 row_mask:0xf bank_mask:0xf// 000000002754: 160808FA FF014204
	s_nop 1                                                    // 00000000275C: BF800001
	v_max_f32_dpp v4, v4, v4 row_bcast:31 row_mask:0xf bank_mask:0xf// 000000002760: 160808FA FF014304
	s_nop 0                                                    // 000000002768: BF800000
	v_readlane_b32 s20, v4, 63                                 // 00000000276C: D2890014 00017F04
	v_mov_b32_e32 v17, s20                                     // 000000002774: 7E220214
	v_add_f32_e32 v19, v19, v17                                // 000000002778: 02262313
	v_cmp_eq_f32_e64 s[24:25], v17, v11                        // 00000000277C: D0420018 00021711
	v_cmp_eq_f32_e64 s[26:27], v17, v12                        // 000000002784: D042001A 00021911
	s_ff1_i32_b64 s28, s[24:25]                                // 00000000278C: BE9C1118
	s_ff1_i32_b64 s29, s[26:27]                                // 000000002790: BE9D111A
	v_readlane_b32 s20, v17, 0                                 // 000000002794: D2890014 00010111
	v_writelane_b32 v14, s20, 3                                // 00000000279C: D28A000E 00010614
	s_mov_b32 s22, s28                                         // 0000000027A4: BE96001C
	s_cmp_eq_u32 s28, -1                                       // 0000000027A8: BF06C11C
	s_cselect_b32 s21, 1, 0                                    // 0000000027AC: 85158081
	s_cbranch_scc0 label_02F3                                  // 0000000027B0: BF840006
	s_add_u32 s35, s21, s35                                    // 0000000027B4: 80232315
	s_mov_b32 s22, s29                                         // 0000000027B8: BE96001D
	s_cmp_eq_u32 s29, -1                                       // 0000000027BC: BF06C11D
	s_cselect_b32 s21, 1, 0                                    // 0000000027C0: 85158081
	s_cbranch_scc0 label_02F3                                  // 0000000027C4: BF840001
	s_add_u32 s35, s21, s35                                    // 0000000027C8: 80232315

00000000000027cc <label_02F3>:
	s_set_gpr_idx_on s35, gpr_idx(DST)                         // 0000000027CC: BF110823
	v_writelane_b32 v11, 0, s22                                // 0000000027D0: D28A000B 00002C80
	s_set_gpr_idx_off                                          // 0000000027D8: BF9C0000
	s_mul_i32 s35, 64, s35                                     // 0000000027DC: 922323C0
	s_add_u32 s35, s22, s35                                    // 0000000027E0: 80232316
	v_writelane_b32 v13, s35, 3                                // 0000000027E4: D28A000D 00010623
	v_max_f32_e32 v17, v11, v12                                // 0000000027EC: 1622190B
	s_nop 1                                                    // 0000000027F0: BF800001
	v_max_f32_dpp v4, v17, v17 quad_perm:[1,0,3,2] row_mask:0xf bank_mask:0xf// 0000000027F4: 160822FA FF00B111
	s_nop 1                                                    // 0000000027FC: BF800001
	v_max_f32_dpp v4, v4, v4 quad_perm:[2,3,0,1] row_mask:0xf bank_mask:0xf// 000000002800: 160808FA FF004E04
	s_nop 1                                                    // 000000002808: BF800001
	v_max_f32_dpp v4, v4, v4 row_shr:4 row_mask:0xf bank_mask:0xf// 00000000280C: 160808FA FF011404
	s_nop 1                                                    // 000000002814: BF800001
	v_max_f32_dpp v4, v4, v4 row_shr:8 row_mask:0xf bank_mask:0xf// 000000002818: 160808FA FF011804
	s_nop 1                                                    // 000000002820: BF800001
	v_max_f32_dpp v4, v4, v4 row_bcast:15 row_mask:0xf bank_mask:0xf// 000000002824: 160808FA FF014204
	s_nop 1                                                    // 00000000282C: BF800001
	v_max_f32_dpp v4, v4, v4 row_bcast:31 row_mask:0xf bank_mask:0xf// 000000002830: 160808FA FF014304
	s_nop 0                                                    // 000000002838: BF800000
	v_readlane_b32 s20, v4, 63                                 // 00000000283C: D2890014 00017F04
	v_mov_b32_e32 v17, s20                                     // 000000002844: 7E220214
	v_add_f32_e32 v19, v19, v17                                // 000000002848: 02262313
	v_cmp_eq_f32_e64 s[24:25], v17, v11                        // 00000000284C: D0420018 00021711
	v_cmp_eq_f32_e64 s[26:27], v17, v12                        // 000000002854: D042001A 00021911
	s_ff1_i32_b64 s28, s[24:25]                                // 00000000285C: BE9C1118
	s_ff1_i32_b64 s29, s[26:27]                                // 000000002860: BE9D111A
	v_readlane_b32 s20, v17, 0                                 // 000000002864: D2890014 00010111
	v_writelane_b32 v14, s20, 4                                // 00000000286C: D28A000E 00010814
	s_mov_b32 s22, s28                                         // 000000002874: BE96001C
	s_cmp_eq_u32 s28, -1                                       // 000000002878: BF06C11C
	s_cselect_b32 s21, 1, 0                                    // 00000000287C: 85158081
	s_cbranch_scc0 label_0327                                  // 000000002880: BF840006
	s_add_u32 s36, s21, s36                                    // 000000002884: 80242415
	s_mov_b32 s22, s29                                         // 000000002888: BE96001D
	s_cmp_eq_u32 s29, -1                                       // 00000000288C: BF06C11D
	s_cselect_b32 s21, 1, 0                                    // 000000002890: 85158081
	s_cbranch_scc0 label_0327                                  // 000000002894: BF840001
	s_add_u32 s36, s21, s36                                    // 000000002898: 80242415

000000000000289c <label_0327>:
	s_set_gpr_idx_on s36, gpr_idx(DST)                         // 00000000289C: BF110824
	v_writelane_b32 v11, 0, s22                                // 0000000028A0: D28A000B 00002C80
	s_set_gpr_idx_off                                          // 0000000028A8: BF9C0000
	s_mul_i32 s36, 64, s36                                     // 0000000028AC: 922424C0
	s_add_u32 s36, s22, s36                                    // 0000000028B0: 80242416
	v_writelane_b32 v13, s36, 4                                // 0000000028B4: D28A000D 00010824
	v_max_f32_e32 v17, v11, v12                                // 0000000028BC: 1622190B
	s_nop 1                                                    // 0000000028C0: BF800001
	v_max_f32_dpp v4, v17, v17 quad_perm:[1,0,3,2] row_mask:0xf bank_mask:0xf// 0000000028C4: 160822FA FF00B111
	s_nop 1                                                    // 0000000028CC: BF800001
	v_max_f32_dpp v4, v4, v4 quad_perm:[2,3,0,1] row_mask:0xf bank_mask:0xf// 0000000028D0: 160808FA FF004E04
	s_nop 1                                                    // 0000000028D8: BF800001
	v_max_f32_dpp v4, v4, v4 row_shr:4 row_mask:0xf bank_mask:0xf// 0000000028DC: 160808FA FF011404
	s_nop 1                                                    // 0000000028E4: BF800001
	v_max_f32_dpp v4, v4, v4 row_shr:8 row_mask:0xf bank_mask:0xf// 0000000028E8: 160808FA FF011804
	s_nop 1                                                    // 0000000028F0: BF800001
	v_max_f32_dpp v4, v4, v4 row_bcast:15 row_mask:0xf bank_mask:0xf// 0000000028F4: 160808FA FF014204
	s_nop 1                                                    // 0000000028FC: BF800001
	v_max_f32_dpp v4, v4, v4 row_bcast:31 row_mask:0xf bank_mask:0xf// 000000002900: 160808FA FF014304
	s_nop 0                                                    // 000000002908: BF800000
	v_readlane_b32 s20, v4, 63                                 // 00000000290C: D2890014 00017F04
	v_mov_b32_e32 v17, s20                                     // 000000002914: 7E220214
	v_add_f32_e32 v19, v19, v17                                // 000000002918: 02262313
	v_cmp_eq_f32_e64 s[24:25], v17, v11                        // 00000000291C: D0420018 00021711
	v_cmp_eq_f32_e64 s[26:27], v17, v12                        // 000000002924: D042001A 00021911
	s_ff1_i32_b64 s28, s[24:25]                                // 00000000292C: BE9C1118
	s_ff1_i32_b64 s29, s[26:27]                                // 000000002930: BE9D111A
	v_readlane_b32 s20, v17, 0                                 // 000000002934: D2890014 00010111
	v_writelane_b32 v14, s20, 5                                // 00000000293C: D28A000E 00010A14
	s_mov_b32 s22, s28                                         // 000000002944: BE96001C
	s_cmp_eq_u32 s28, -1                                       // 000000002948: BF06C11C
	s_cselect_b32 s21, 1, 0                                    // 00000000294C: 85158081
	s_cbranch_scc0 label_035B                                  // 000000002950: BF840006
	s_add_u32 s37, s21, s37                                    // 000000002954: 80252515
	s_mov_b32 s22, s29                                         // 000000002958: BE96001D
	s_cmp_eq_u32 s29, -1                                       // 00000000295C: BF06C11D
	s_cselect_b32 s21, 1, 0                                    // 000000002960: 85158081
	s_cbranch_scc0 label_035B                                  // 000000002964: BF840001
	s_add_u32 s37, s21, s37                                    // 000000002968: 80252515

000000000000296c <label_035B>:
	s_set_gpr_idx_on s37, gpr_idx(DST)                         // 00000000296C: BF110825
	v_writelane_b32 v11, 0, s22                                // 000000002970: D28A000B 00002C80
	s_set_gpr_idx_off                                          // 000000002978: BF9C0000
	s_mul_i32 s37, 64, s37                                     // 00000000297C: 922525C0
	s_add_u32 s37, s22, s37                                    // 000000002980: 80252516
	v_writelane_b32 v13, s37, 5                                // 000000002984: D28A000D 00010A25
	v_max_f32_e32 v17, v11, v12                                // 00000000298C: 1622190B
	s_nop 1                                                    // 000000002990: BF800001
	v_max_f32_dpp v4, v17, v17 quad_perm:[1,0,3,2] row_mask:0xf bank_mask:0xf// 000000002994: 160822FA FF00B111
	s_nop 1                                                    // 00000000299C: BF800001
	v_max_f32_dpp v4, v4, v4 quad_perm:[2,3,0,1] row_mask:0xf bank_mask:0xf// 0000000029A0: 160808FA FF004E04
	s_nop 1                                                    // 0000000029A8: BF800001
	v_max_f32_dpp v4, v4, v4 row_shr:4 row_mask:0xf bank_mask:0xf// 0000000029AC: 160808FA FF011404
	s_nop 1                                                    // 0000000029B4: BF800001
	v_max_f32_dpp v4, v4, v4 row_shr:8 row_mask:0xf bank_mask:0xf// 0000000029B8: 160808FA FF011804
	s_nop 1                                                    // 0000000029C0: BF800001
	v_max_f32_dpp v4, v4, v4 row_bcast:15 row_mask:0xf bank_mask:0xf// 0000000029C4: 160808FA FF014204
	s_nop 1                                                    // 0000000029CC: BF800001
	v_max_f32_dpp v4, v4, v4 row_bcast:31 row_mask:0xf bank_mask:0xf// 0000000029D0: 160808FA FF014304
	s_nop 0                                                    // 0000000029D8: BF800000
	v_readlane_b32 s20, v4, 63                                 // 0000000029DC: D2890014 00017F04
	v_mov_b32_e32 v17, s20                                     // 0000000029E4: 7E220214
	v_add_f32_e32 v19, v19, v17                                // 0000000029E8: 02262313
	v_cmp_eq_f32_e64 s[24:25], v17, v11                        // 0000000029EC: D0420018 00021711
	v_cmp_eq_f32_e64 s[26:27], v17, v12                        // 0000000029F4: D042001A 00021911
	s_ff1_i32_b64 s28, s[24:25]                                // 0000000029FC: BE9C1118
	s_ff1_i32_b64 s29, s[26:27]                                // 000000002A00: BE9D111A
	v_readlane_b32 s20, v17, 0                                 // 000000002A04: D2890014 00010111
	v_writelane_b32 v14, s20, 6                                // 000000002A0C: D28A000E 00010C14
	s_mov_b32 s22, s28                                         // 000000002A14: BE96001C
	s_cmp_eq_u32 s28, -1                                       // 000000002A18: BF06C11C
	s_cselect_b32 s21, 1, 0                                    // 000000002A1C: 85158081
	s_cbranch_scc0 label_038F                                  // 000000002A20: BF840006
	s_add_u32 s38, s21, s38                                    // 000000002A24: 80262615
	s_mov_b32 s22, s29                                         // 000000002A28: BE96001D
	s_cmp_eq_u32 s29, -1                                       // 000000002A2C: BF06C11D
	s_cselect_b32 s21, 1, 0                                    // 000000002A30: 85158081
	s_cbranch_scc0 label_038F                                  // 000000002A34: BF840001
	s_add_u32 s38, s21, s38                                    // 000000002A38: 80262615

0000000000002a3c <label_038F>:
	s_set_gpr_idx_on s38, gpr_idx(DST)                         // 000000002A3C: BF110826
	v_writelane_b32 v11, 0, s22                                // 000000002A40: D28A000B 00002C80
	s_set_gpr_idx_off                                          // 000000002A48: BF9C0000
	s_mul_i32 s38, 64, s38                                     // 000000002A4C: 922626C0
	s_add_u32 s38, s22, s38                                    // 000000002A50: 80262616
	v_writelane_b32 v13, s38, 6                                // 000000002A54: D28A000D 00010C26
	v_max_f32_e32 v17, v11, v12                                // 000000002A5C: 1622190B
	s_nop 1                                                    // 000000002A60: BF800001
	v_max_f32_dpp v4, v17, v17 quad_perm:[1,0,3,2] row_mask:0xf bank_mask:0xf// 000000002A64: 160822FA FF00B111
	s_nop 1                                                    // 000000002A6C: BF800001
	v_max_f32_dpp v4, v4, v4 quad_perm:[2,3,0,1] row_mask:0xf bank_mask:0xf// 000000002A70: 160808FA FF004E04
	s_nop 1                                                    // 000000002A78: BF800001
	v_max_f32_dpp v4, v4, v4 row_shr:4 row_mask:0xf bank_mask:0xf// 000000002A7C: 160808FA FF011404
	s_nop 1                                                    // 000000002A84: BF800001
	v_max_f32_dpp v4, v4, v4 row_shr:8 row_mask:0xf bank_mask:0xf// 000000002A88: 160808FA FF011804
	s_nop 1                                                    // 000000002A90: BF800001
	v_max_f32_dpp v4, v4, v4 row_bcast:15 row_mask:0xf bank_mask:0xf// 000000002A94: 160808FA FF014204
	s_nop 1                                                    // 000000002A9C: BF800001
	v_max_f32_dpp v4, v4, v4 row_bcast:31 row_mask:0xf bank_mask:0xf// 000000002AA0: 160808FA FF014304
	s_nop 0                                                    // 000000002AA8: BF800000
	v_readlane_b32 s20, v4, 63                                 // 000000002AAC: D2890014 00017F04
	v_mov_b32_e32 v17, s20                                     // 000000002AB4: 7E220214
	v_add_f32_e32 v19, v19, v17                                // 000000002AB8: 02262313
	v_cmp_eq_f32_e64 s[24:25], v17, v11                        // 000000002ABC: D0420018 00021711
	v_cmp_eq_f32_e64 s[26:27], v17, v12                        // 000000002AC4: D042001A 00021911
	s_ff1_i32_b64 s28, s[24:25]                                // 000000002ACC: BE9C1118
	s_ff1_i32_b64 s29, s[26:27]                                // 000000002AD0: BE9D111A
	v_readlane_b32 s20, v17, 0                                 // 000000002AD4: D2890014 00010111
	v_writelane_b32 v14, s20, 7                                // 000000002ADC: D28A000E 00010E14
	s_mov_b32 s22, s28                                         // 000000002AE4: BE96001C
	s_cmp_eq_u32 s28, -1                                       // 000000002AE8: BF06C11C
	s_cselect_b32 s21, 1, 0                                    // 000000002AEC: 85158081
	s_cbranch_scc0 label_03C3                                  // 000000002AF0: BF840006
	s_add_u32 s39, s21, s39                                    // 000000002AF4: 80272715
	s_mov_b32 s22, s29                                         // 000000002AF8: BE96001D
	s_cmp_eq_u32 s29, -1                                       // 000000002AFC: BF06C11D
	s_cselect_b32 s21, 1, 0                                    // 000000002B00: 85158081
	s_cbranch_scc0 label_03C3                                  // 000000002B04: BF840001
	s_add_u32 s39, s21, s39                                    // 000000002B08: 80272715

0000000000002b0c <label_03C3>:
	s_set_gpr_idx_on s39, gpr_idx(DST)                         // 000000002B0C: BF110827
	v_writelane_b32 v11, 0, s22                                // 000000002B10: D28A000B 00002C80
	s_set_gpr_idx_off                                          // 000000002B18: BF9C0000
	s_mul_i32 s39, 64, s39                                     // 000000002B1C: 922727C0
	s_add_u32 s39, s22, s39                                    // 000000002B20: 80272716
	v_writelane_b32 v13, s39, 7                                // 000000002B24: D28A000D 00010E27
	s_bfm_b64 exec, s18, 0                                     // 000000002B2C: 91FE8012
	buffer_store_dword v13, v9, s[4:7], 0 offen                // 000000002B30: E0701000 80010D09
	v_rcp_f32_e32 v19, v19                                     // 000000002B38: 7E264513
	s_nop 0                                                    // 000000002B3C: BF800000
	v_mul_f32_e32 v14, v14, v19                                // 000000002B40: 0A1C270E
	buffer_store_dword v14, v10, s[8:11], 0 offen              // 000000002B44: E0701000 80020E0A

0000000000002b4c <label_03D3>:
	s_waitcnt vmcnt(0) expcnt(0) lgkmcnt(0)                    // 000000002B4C: BF8C0000
	s_endpgm                                                   // 000000002B50: BF810000
